;; amdgpu-corpus repo=ROCm/rocFFT kind=compiled arch=gfx1030 opt=O3
	.text
	.amdgcn_target "amdgcn-amd-amdhsa--gfx1030"
	.amdhsa_code_object_version 6
	.protected	fft_rtc_fwd_len242_factors_11_2_11_wgs_110_tpt_22_dp_op_CI_CI_unitstride_sbrr_C2R_dirReg ; -- Begin function fft_rtc_fwd_len242_factors_11_2_11_wgs_110_tpt_22_dp_op_CI_CI_unitstride_sbrr_C2R_dirReg
	.globl	fft_rtc_fwd_len242_factors_11_2_11_wgs_110_tpt_22_dp_op_CI_CI_unitstride_sbrr_C2R_dirReg
	.p2align	8
	.type	fft_rtc_fwd_len242_factors_11_2_11_wgs_110_tpt_22_dp_op_CI_CI_unitstride_sbrr_C2R_dirReg,@function
fft_rtc_fwd_len242_factors_11_2_11_wgs_110_tpt_22_dp_op_CI_CI_unitstride_sbrr_C2R_dirReg: ; @fft_rtc_fwd_len242_factors_11_2_11_wgs_110_tpt_22_dp_op_CI_CI_unitstride_sbrr_C2R_dirReg
; %bb.0:
	s_load_dwordx4 s[12:15], s[4:5], 0x0
	v_mul_u32_u24_e32 v1, 0xba3, v0
	s_clause 0x1
	s_load_dwordx4 s[8:11], s[4:5], 0x58
	s_load_dwordx4 s[16:19], s[4:5], 0x18
	v_mov_b32_e32 v5, 0
	v_lshrrev_b32_e32 v3, 16, v1
	v_mov_b32_e32 v1, 0
	v_mov_b32_e32 v2, 0
	v_mad_u64_u32 v[3:4], null, s6, 5, v[3:4]
	v_mov_b32_e32 v4, v5
	v_mov_b32_e32 v49, v2
	;; [unrolled: 1-line block ×5, first 2 shown]
	s_waitcnt lgkmcnt(0)
	v_cmp_lt_u64_e64 s0, s[14:15], 2
	s_and_b32 vcc_lo, exec_lo, s0
	s_cbranch_vccnz .LBB0_8
; %bb.1:
	s_load_dwordx2 s[0:1], s[4:5], 0x10
	v_mov_b32_e32 v1, 0
	v_mov_b32_e32 v2, 0
	s_add_u32 s2, s18, 8
	v_mov_b32_e32 v8, v4
	s_addc_u32 s3, s19, 0
	v_mov_b32_e32 v7, v3
	v_mov_b32_e32 v49, v2
	s_add_u32 s6, s16, 8
	v_mov_b32_e32 v48, v1
	s_addc_u32 s7, s17, 0
	s_mov_b64 s[22:23], 1
	s_waitcnt lgkmcnt(0)
	s_add_u32 s20, s0, 8
	s_addc_u32 s21, s1, 0
.LBB0_2:                                ; =>This Inner Loop Header: Depth=1
	s_load_dwordx2 s[24:25], s[20:21], 0x0
                                        ; implicit-def: $vgpr50_vgpr51
	s_mov_b32 s0, exec_lo
	s_waitcnt lgkmcnt(0)
	v_or_b32_e32 v6, s25, v8
	v_cmpx_ne_u64_e32 0, v[5:6]
	s_xor_b32 s1, exec_lo, s0
	s_cbranch_execz .LBB0_4
; %bb.3:                                ;   in Loop: Header=BB0_2 Depth=1
	v_cvt_f32_u32_e32 v4, s24
	v_cvt_f32_u32_e32 v6, s25
	s_sub_u32 s0, 0, s24
	s_subb_u32 s26, 0, s25
	v_fmac_f32_e32 v4, 0x4f800000, v6
	v_rcp_f32_e32 v4, v4
	v_mul_f32_e32 v4, 0x5f7ffffc, v4
	v_mul_f32_e32 v6, 0x2f800000, v4
	v_trunc_f32_e32 v6, v6
	v_fmac_f32_e32 v4, 0xcf800000, v6
	v_cvt_u32_f32_e32 v6, v6
	v_cvt_u32_f32_e32 v4, v4
	v_mul_lo_u32 v9, s0, v6
	v_mul_hi_u32 v10, s0, v4
	v_mul_lo_u32 v11, s26, v4
	v_add_nc_u32_e32 v9, v10, v9
	v_mul_lo_u32 v10, s0, v4
	v_add_nc_u32_e32 v9, v9, v11
	v_mul_hi_u32 v11, v4, v10
	v_mul_lo_u32 v12, v4, v9
	v_mul_hi_u32 v13, v4, v9
	v_mul_hi_u32 v14, v6, v10
	v_mul_lo_u32 v10, v6, v10
	v_mul_hi_u32 v15, v6, v9
	v_mul_lo_u32 v9, v6, v9
	v_add_co_u32 v11, vcc_lo, v11, v12
	v_add_co_ci_u32_e32 v12, vcc_lo, 0, v13, vcc_lo
	v_add_co_u32 v10, vcc_lo, v11, v10
	v_add_co_ci_u32_e32 v10, vcc_lo, v12, v14, vcc_lo
	v_add_co_ci_u32_e32 v11, vcc_lo, 0, v15, vcc_lo
	v_add_co_u32 v9, vcc_lo, v10, v9
	v_add_co_ci_u32_e32 v10, vcc_lo, 0, v11, vcc_lo
	v_add_co_u32 v4, vcc_lo, v4, v9
	v_add_co_ci_u32_e32 v6, vcc_lo, v6, v10, vcc_lo
	v_mul_hi_u32 v9, s0, v4
	v_mul_lo_u32 v11, s26, v4
	v_mul_lo_u32 v10, s0, v6
	v_add_nc_u32_e32 v9, v9, v10
	v_mul_lo_u32 v10, s0, v4
	v_add_nc_u32_e32 v9, v9, v11
	v_mul_hi_u32 v11, v4, v10
	v_mul_lo_u32 v12, v4, v9
	v_mul_hi_u32 v13, v4, v9
	v_mul_hi_u32 v14, v6, v10
	v_mul_lo_u32 v10, v6, v10
	v_mul_hi_u32 v15, v6, v9
	v_mul_lo_u32 v9, v6, v9
	v_add_co_u32 v11, vcc_lo, v11, v12
	v_add_co_ci_u32_e32 v12, vcc_lo, 0, v13, vcc_lo
	v_add_co_u32 v10, vcc_lo, v11, v10
	v_add_co_ci_u32_e32 v10, vcc_lo, v12, v14, vcc_lo
	v_add_co_ci_u32_e32 v11, vcc_lo, 0, v15, vcc_lo
	v_add_co_u32 v9, vcc_lo, v10, v9
	v_add_co_ci_u32_e32 v10, vcc_lo, 0, v11, vcc_lo
	v_add_co_u32 v4, vcc_lo, v4, v9
	v_add_co_ci_u32_e32 v6, vcc_lo, v6, v10, vcc_lo
	v_mul_hi_u32 v15, v7, v4
	v_mad_u64_u32 v[11:12], null, v8, v4, 0
	v_mad_u64_u32 v[9:10], null, v7, v6, 0
	;; [unrolled: 1-line block ×3, first 2 shown]
	v_add_co_u32 v4, vcc_lo, v15, v9
	v_add_co_ci_u32_e32 v6, vcc_lo, 0, v10, vcc_lo
	v_add_co_u32 v4, vcc_lo, v4, v11
	v_add_co_ci_u32_e32 v4, vcc_lo, v6, v12, vcc_lo
	v_add_co_ci_u32_e32 v6, vcc_lo, 0, v14, vcc_lo
	v_add_co_u32 v4, vcc_lo, v4, v13
	v_add_co_ci_u32_e32 v6, vcc_lo, 0, v6, vcc_lo
	v_mul_lo_u32 v11, s25, v4
	v_mad_u64_u32 v[9:10], null, s24, v4, 0
	v_mul_lo_u32 v12, s24, v6
	v_sub_co_u32 v9, vcc_lo, v7, v9
	v_add3_u32 v10, v10, v12, v11
	v_sub_nc_u32_e32 v11, v8, v10
	v_subrev_co_ci_u32_e64 v11, s0, s25, v11, vcc_lo
	v_add_co_u32 v12, s0, v4, 2
	v_add_co_ci_u32_e64 v13, s0, 0, v6, s0
	v_sub_co_u32 v14, s0, v9, s24
	v_sub_co_ci_u32_e32 v10, vcc_lo, v8, v10, vcc_lo
	v_subrev_co_ci_u32_e64 v11, s0, 0, v11, s0
	v_cmp_le_u32_e32 vcc_lo, s24, v14
	v_cmp_eq_u32_e64 s0, s25, v10
	v_cndmask_b32_e64 v14, 0, -1, vcc_lo
	v_cmp_le_u32_e32 vcc_lo, s25, v11
	v_cndmask_b32_e64 v15, 0, -1, vcc_lo
	v_cmp_le_u32_e32 vcc_lo, s24, v9
	;; [unrolled: 2-line block ×3, first 2 shown]
	v_cndmask_b32_e64 v16, 0, -1, vcc_lo
	v_cmp_eq_u32_e32 vcc_lo, s25, v11
	v_cndmask_b32_e64 v9, v16, v9, s0
	v_cndmask_b32_e32 v11, v15, v14, vcc_lo
	v_add_co_u32 v14, vcc_lo, v4, 1
	v_add_co_ci_u32_e32 v15, vcc_lo, 0, v6, vcc_lo
	v_cmp_ne_u32_e32 vcc_lo, 0, v11
	v_cndmask_b32_e32 v10, v15, v13, vcc_lo
	v_cndmask_b32_e32 v11, v14, v12, vcc_lo
	v_cmp_ne_u32_e32 vcc_lo, 0, v9
	v_cndmask_b32_e32 v51, v6, v10, vcc_lo
	v_cndmask_b32_e32 v50, v4, v11, vcc_lo
.LBB0_4:                                ;   in Loop: Header=BB0_2 Depth=1
	s_andn2_saveexec_b32 s0, s1
	s_cbranch_execz .LBB0_6
; %bb.5:                                ;   in Loop: Header=BB0_2 Depth=1
	v_cvt_f32_u32_e32 v4, s24
	s_sub_i32 s1, 0, s24
	v_mov_b32_e32 v51, v5
	v_rcp_iflag_f32_e32 v4, v4
	v_mul_f32_e32 v4, 0x4f7ffffe, v4
	v_cvt_u32_f32_e32 v4, v4
	v_mul_lo_u32 v6, s1, v4
	v_mul_hi_u32 v6, v4, v6
	v_add_nc_u32_e32 v4, v4, v6
	v_mul_hi_u32 v4, v7, v4
	v_mul_lo_u32 v6, v4, s24
	v_add_nc_u32_e32 v9, 1, v4
	v_sub_nc_u32_e32 v6, v7, v6
	v_subrev_nc_u32_e32 v10, s24, v6
	v_cmp_le_u32_e32 vcc_lo, s24, v6
	v_cndmask_b32_e32 v6, v6, v10, vcc_lo
	v_cndmask_b32_e32 v4, v4, v9, vcc_lo
	v_cmp_le_u32_e32 vcc_lo, s24, v6
	v_add_nc_u32_e32 v9, 1, v4
	v_cndmask_b32_e32 v50, v4, v9, vcc_lo
.LBB0_6:                                ;   in Loop: Header=BB0_2 Depth=1
	s_or_b32 exec_lo, exec_lo, s0
	v_mul_lo_u32 v4, v51, s24
	v_mul_lo_u32 v6, v50, s25
	s_load_dwordx2 s[0:1], s[6:7], 0x0
	v_mad_u64_u32 v[9:10], null, v50, s24, 0
	s_load_dwordx2 s[24:25], s[2:3], 0x0
	s_add_u32 s22, s22, 1
	s_addc_u32 s23, s23, 0
	s_add_u32 s2, s2, 8
	s_addc_u32 s3, s3, 0
	s_add_u32 s6, s6, 8
	v_add3_u32 v4, v10, v6, v4
	v_sub_co_u32 v6, vcc_lo, v7, v9
	s_addc_u32 s7, s7, 0
	s_add_u32 s20, s20, 8
	v_sub_co_ci_u32_e32 v4, vcc_lo, v8, v4, vcc_lo
	s_addc_u32 s21, s21, 0
	s_waitcnt lgkmcnt(0)
	v_mul_lo_u32 v7, s0, v4
	v_mul_lo_u32 v8, s1, v6
	v_mad_u64_u32 v[1:2], null, s0, v6, v[1:2]
	v_mul_lo_u32 v4, s24, v4
	v_mul_lo_u32 v9, s25, v6
	v_mad_u64_u32 v[48:49], null, s24, v6, v[48:49]
	v_cmp_ge_u64_e64 s0, s[22:23], s[14:15]
	v_add3_u32 v2, v8, v2, v7
	v_add3_u32 v49, v9, v49, v4
	s_and_b32 vcc_lo, exec_lo, s0
	s_cbranch_vccnz .LBB0_8
; %bb.7:                                ;   in Loop: Header=BB0_2 Depth=1
	v_mov_b32_e32 v7, v50
	v_mov_b32_e32 v8, v51
	s_branch .LBB0_2
.LBB0_8:
	s_load_dwordx2 s[0:1], s[4:5], 0x28
	v_mul_hi_u32 v4, 0xcccccccd, v3
	s_lshl_b64 s[4:5], s[14:15], 3
                                        ; implicit-def: $vgpr52
	s_add_u32 s2, s18, s4
	s_addc_u32 s3, s19, s5
	v_lshrrev_b32_e32 v4, 2, v4
	v_lshl_add_u32 v5, v4, 2, v4
	v_mul_hi_u32 v4, 0xba2e8bb, v0
	v_sub_nc_u32_e32 v3, v3, v5
	s_waitcnt lgkmcnt(0)
	v_cmp_gt_u64_e32 vcc_lo, s[0:1], v[50:51]
	v_cmp_le_u64_e64 s0, s[0:1], v[50:51]
	s_and_saveexec_b32 s1, s0
	s_xor_b32 s0, exec_lo, s1
; %bb.9:
	v_mul_u32_u24_e32 v1, 22, v4
                                        ; implicit-def: $vgpr4
	v_sub_nc_u32_e32 v52, v0, v1
                                        ; implicit-def: $vgpr0
                                        ; implicit-def: $vgpr1_vgpr2
; %bb.10:
	s_or_saveexec_b32 s1, s0
	s_load_dwordx2 s[2:3], s[2:3], 0x0
	v_mul_u32_u24_e32 v3, 0xf3, v3
	v_lshlrev_b32_e32 v55, 4, v3
	s_xor_b32 exec_lo, exec_lo, s1
	s_cbranch_execz .LBB0_14
; %bb.11:
	s_add_u32 s4, s16, s4
	s_addc_u32 s5, s17, s5
	v_lshlrev_b64 v[1:2], 4, v[1:2]
	s_load_dwordx2 s[4:5], s[4:5], 0x0
	s_waitcnt lgkmcnt(0)
	v_mul_lo_u32 v7, s5, v50
	v_mul_lo_u32 v8, s4, v51
	v_mad_u64_u32 v[5:6], null, s4, v50, 0
	s_mov_b32 s4, exec_lo
	v_add3_u32 v6, v6, v8, v7
	v_mul_u32_u24_e32 v7, 22, v4
	v_lshlrev_b64 v[4:5], 4, v[5:6]
	v_sub_nc_u32_e32 v52, v0, v7
	v_lshlrev_b32_e32 v53, 4, v52
	v_add_co_u32 v0, s0, s8, v4
	v_add_co_ci_u32_e64 v4, s0, s9, v5, s0
	v_add_co_u32 v0, s0, v0, v1
	v_add_co_ci_u32_e64 v1, s0, v4, v2, s0
	v_add3_u32 v2, 0, v55, v53
	v_add_co_u32 v24, s0, v0, v53
	v_add_co_ci_u32_e64 v25, s0, 0, v1, s0
	s_clause 0x1
	global_load_dwordx4 v[4:7], v[24:25], off
	global_load_dwordx4 v[8:11], v[24:25], off offset:352
	v_add_co_u32 v44, s0, 0x800, v24
	v_add_co_ci_u32_e64 v45, s0, 0, v25, s0
	s_clause 0x8
	global_load_dwordx4 v[12:15], v[24:25], off offset:704
	global_load_dwordx4 v[16:19], v[24:25], off offset:1056
	;; [unrolled: 1-line block ×9, first 2 shown]
	s_waitcnt vmcnt(10)
	ds_write_b128 v2, v[4:7]
	s_waitcnt vmcnt(9)
	ds_write_b128 v2, v[8:11] offset:352
	s_waitcnt vmcnt(8)
	ds_write_b128 v2, v[12:15] offset:704
	;; [unrolled: 2-line block ×10, first 2 shown]
	v_cmpx_eq_u32_e32 21, v52
	s_cbranch_execz .LBB0_13
; %bb.12:
	v_add_co_u32 v0, s0, 0x800, v0
	v_add_co_ci_u32_e64 v1, s0, 0, v1, s0
	v_mov_b32_e32 v52, 21
	global_load_dwordx4 v[4:7], v[0:1], off offset:1824
	s_waitcnt vmcnt(0)
	ds_write_b128 v2, v[4:7] offset:3536
.LBB0_13:
	s_or_b32 exec_lo, exec_lo, s4
.LBB0_14:
	s_or_b32 exec_lo, exec_lo, s1
	v_lshl_add_u32 v61, v3, 4, 0
	v_lshlrev_b32_e32 v10, 4, v52
	s_waitcnt lgkmcnt(0)
	s_barrier
	buffer_gl0_inv
	s_add_u32 s1, s12, 0xe70
	v_add_nc_u32_e32 v54, v61, v10
	v_sub_nc_u32_e32 v11, v61, v10
	s_addc_u32 s4, s13, 0
	s_mov_b32 s5, exec_lo
	ds_read_b64 v[6:7], v54
	ds_read_b64 v[8:9], v11 offset:3872
                                        ; implicit-def: $vgpr4_vgpr5
	s_waitcnt lgkmcnt(0)
	v_add_f64 v[0:1], v[6:7], v[8:9]
	v_add_f64 v[2:3], v[6:7], -v[8:9]
	v_cmpx_ne_u32_e32 0, v52
	s_xor_b32 s5, exec_lo, s5
	s_cbranch_execz .LBB0_16
; %bb.15:
	v_mov_b32_e32 v53, 0
	v_add_f64 v[14:15], v[6:7], v[8:9]
	v_add_f64 v[16:17], v[6:7], -v[8:9]
	v_lshlrev_b64 v[0:1], 4, v[52:53]
	v_add_co_u32 v0, s0, s1, v0
	v_add_co_ci_u32_e64 v1, s0, s4, v1, s0
	global_load_dwordx4 v[2:5], v[0:1], off
	ds_read_b64 v[0:1], v11 offset:3880
	ds_read_b64 v[12:13], v54 offset:8
	s_waitcnt lgkmcnt(0)
	v_add_f64 v[6:7], v[0:1], v[12:13]
	v_add_f64 v[0:1], v[12:13], -v[0:1]
	s_waitcnt vmcnt(0)
	v_fma_f64 v[8:9], v[16:17], v[4:5], v[14:15]
	v_fma_f64 v[12:13], -v[16:17], v[4:5], v[14:15]
	v_fma_f64 v[14:15], v[6:7], v[4:5], -v[0:1]
	v_fma_f64 v[4:5], v[6:7], v[4:5], v[0:1]
	v_fma_f64 v[0:1], -v[6:7], v[2:3], v[8:9]
	v_fma_f64 v[6:7], v[6:7], v[2:3], v[12:13]
	v_fma_f64 v[8:9], v[16:17], v[2:3], v[14:15]
	;; [unrolled: 1-line block ×3, first 2 shown]
	v_mov_b32_e32 v4, v52
	v_mov_b32_e32 v5, v53
	ds_write_b128 v11, v[6:9] offset:3872
.LBB0_16:
	s_andn2_saveexec_b32 s0, s5
	s_cbranch_execz .LBB0_18
; %bb.17:
	ds_read_b128 v[4:7], v61 offset:1936
	s_waitcnt lgkmcnt(0)
	v_add_f64 v[12:13], v[4:5], v[4:5]
	v_mul_f64 v[14:15], v[6:7], -2.0
	v_mov_b32_e32 v4, 0
	v_mov_b32_e32 v5, 0
	ds_write_b128 v61, v[12:15] offset:1936
.LBB0_18:
	s_or_b32 exec_lo, exec_lo, s0
	v_lshlrev_b64 v[4:5], 4, v[4:5]
	v_add_co_u32 v4, s0, s1, v4
	v_add_co_ci_u32_e64 v5, s0, s4, v5, s0
	v_cmp_gt_u32_e64 s0, 11, v52
	s_clause 0x2
	global_load_dwordx4 v[6:9], v[4:5], off offset:352
	global_load_dwordx4 v[12:15], v[4:5], off offset:704
	;; [unrolled: 1-line block ×3, first 2 shown]
	ds_write_b128 v54, v[0:3]
	ds_read_b128 v[0:3], v54 offset:352
	ds_read_b128 v[20:23], v11 offset:3520
	global_load_dwordx4 v[24:27], v[4:5], off offset:1408
	s_waitcnt lgkmcnt(0)
	v_add_f64 v[28:29], v[0:1], v[20:21]
	v_add_f64 v[30:31], v[22:23], v[2:3]
	v_add_f64 v[32:33], v[0:1], -v[20:21]
	v_add_f64 v[0:1], v[2:3], -v[22:23]
	s_waitcnt vmcnt(3)
	v_fma_f64 v[2:3], v[32:33], v[8:9], v[28:29]
	v_fma_f64 v[20:21], v[30:31], v[8:9], v[0:1]
	v_fma_f64 v[22:23], -v[32:33], v[8:9], v[28:29]
	v_fma_f64 v[8:9], v[30:31], v[8:9], -v[0:1]
	v_fma_f64 v[0:1], -v[30:31], v[6:7], v[2:3]
	v_fma_f64 v[2:3], v[32:33], v[6:7], v[20:21]
	v_fma_f64 v[20:21], v[30:31], v[6:7], v[22:23]
	v_fma_f64 v[22:23], v[32:33], v[6:7], v[8:9]
	ds_write_b128 v54, v[0:3] offset:352
	ds_write_b128 v11, v[20:23] offset:3520
	ds_read_b128 v[0:3], v54 offset:704
	ds_read_b128 v[6:9], v11 offset:3168
	s_waitcnt lgkmcnt(0)
	v_add_f64 v[20:21], v[0:1], v[6:7]
	v_add_f64 v[22:23], v[8:9], v[2:3]
	v_add_f64 v[28:29], v[0:1], -v[6:7]
	v_add_f64 v[0:1], v[2:3], -v[8:9]
	s_waitcnt vmcnt(2)
	v_fma_f64 v[2:3], v[28:29], v[14:15], v[20:21]
	v_fma_f64 v[6:7], v[22:23], v[14:15], v[0:1]
	v_fma_f64 v[8:9], -v[28:29], v[14:15], v[20:21]
	v_fma_f64 v[14:15], v[22:23], v[14:15], -v[0:1]
	v_fma_f64 v[0:1], -v[22:23], v[12:13], v[2:3]
	v_fma_f64 v[2:3], v[28:29], v[12:13], v[6:7]
	v_fma_f64 v[6:7], v[22:23], v[12:13], v[8:9]
	v_fma_f64 v[8:9], v[28:29], v[12:13], v[14:15]
	ds_write_b128 v54, v[0:3] offset:704
	ds_write_b128 v11, v[6:9] offset:3168
	ds_read_b128 v[0:3], v54 offset:1056
	ds_read_b128 v[6:9], v11 offset:2816
	;; [unrolled: 18-line block ×3, first 2 shown]
	s_waitcnt lgkmcnt(0)
	v_add_f64 v[12:13], v[0:1], v[6:7]
	v_add_f64 v[14:15], v[8:9], v[2:3]
	v_add_f64 v[16:17], v[0:1], -v[6:7]
	v_add_f64 v[0:1], v[2:3], -v[8:9]
	s_waitcnt vmcnt(0)
	v_fma_f64 v[2:3], v[16:17], v[26:27], v[12:13]
	v_fma_f64 v[6:7], v[14:15], v[26:27], v[0:1]
	v_fma_f64 v[8:9], -v[16:17], v[26:27], v[12:13]
	v_fma_f64 v[12:13], v[14:15], v[26:27], -v[0:1]
	v_fma_f64 v[0:1], -v[14:15], v[24:25], v[2:3]
	v_fma_f64 v[2:3], v[16:17], v[24:25], v[6:7]
	v_fma_f64 v[6:7], v[14:15], v[24:25], v[8:9]
	;; [unrolled: 1-line block ×3, first 2 shown]
	ds_write_b128 v54, v[0:3] offset:1408
	ds_write_b128 v11, v[6:9] offset:2464
	s_and_saveexec_b32 s1, s0
	s_cbranch_execz .LBB0_20
; %bb.19:
	global_load_dwordx4 v[0:3], v[4:5], off offset:1760
	ds_read_b128 v[4:7], v54 offset:1760
	ds_read_b128 v[12:15], v11 offset:2112
	s_waitcnt lgkmcnt(0)
	v_add_f64 v[8:9], v[4:5], v[12:13]
	v_add_f64 v[16:17], v[14:15], v[6:7]
	v_add_f64 v[12:13], v[4:5], -v[12:13]
	v_add_f64 v[4:5], v[6:7], -v[14:15]
	s_waitcnt vmcnt(0)
	v_fma_f64 v[6:7], v[12:13], v[2:3], v[8:9]
	v_fma_f64 v[14:15], v[16:17], v[2:3], v[4:5]
	v_fma_f64 v[8:9], -v[12:13], v[2:3], v[8:9]
	v_fma_f64 v[18:19], v[16:17], v[2:3], -v[4:5]
	v_fma_f64 v[2:3], -v[16:17], v[0:1], v[6:7]
	v_fma_f64 v[4:5], v[12:13], v[0:1], v[14:15]
	v_fma_f64 v[6:7], v[16:17], v[0:1], v[8:9]
	;; [unrolled: 1-line block ×3, first 2 shown]
	ds_write_b128 v54, v[2:5] offset:1760
	ds_write_b128 v11, v[6:9] offset:2112
.LBB0_20:
	s_or_b32 exec_lo, exec_lo, s1
	v_add3_u32 v62, 0, v10, v55
	s_waitcnt lgkmcnt(0)
	s_barrier
	buffer_gl0_inv
	s_barrier
	buffer_gl0_inv
	ds_read_b128 v[0:3], v54
	ds_read_b128 v[4:7], v62 offset:352
	ds_read_b128 v[12:15], v62 offset:704
	;; [unrolled: 1-line block ×10, first 2 shown]
	s_mov_b32 s26, 0xf8bb580b
	s_mov_b32 s27, 0xbfe14ced
	;; [unrolled: 1-line block ×15, first 2 shown]
	s_waitcnt lgkmcnt(9)
	v_add_f64 v[44:45], v[0:1], v[4:5]
	v_add_f64 v[46:47], v[2:3], v[6:7]
	s_waitcnt lgkmcnt(6)
	v_add_f64 v[58:59], v[16:17], v[20:21]
	v_add_f64 v[63:64], v[18:19], v[22:23]
	v_add_f64 v[65:66], v[16:17], -v[20:21]
	v_add_f64 v[67:68], v[18:19], -v[22:23]
	s_waitcnt lgkmcnt(5)
	v_add_f64 v[56:57], v[6:7], -v[10:11]
	v_add_f64 v[69:70], v[4:5], -v[8:9]
	s_waitcnt lgkmcnt(1)
	v_add_f64 v[79:80], v[14:15], -v[38:39]
	v_add_f64 v[81:82], v[12:13], -v[36:37]
	v_add_f64 v[4:5], v[4:5], v[8:9]
	v_add_f64 v[6:7], v[6:7], v[10:11]
	s_mov_b32 s20, 0x7f775887
	s_mov_b32 s6, 0x9bcd5057
	;; [unrolled: 1-line block ×7, first 2 shown]
	s_waitcnt lgkmcnt(0)
	v_add_f64 v[85:86], v[42:43], v[30:31]
	v_add_f64 v[89:90], v[42:43], -v[30:31]
	v_add_f64 v[71:72], v[24:25], v[32:33]
	v_add_f64 v[44:45], v[44:45], v[12:13]
	;; [unrolled: 1-line block ×6, first 2 shown]
	v_add_f64 v[75:76], v[24:25], -v[32:33]
	v_mul_f64 v[91:92], v[56:57], s[16:17]
	v_mul_f64 v[97:98], v[69:70], s[18:19]
	;; [unrolled: 1-line block ×11, first 2 shown]
	v_add_f64 v[77:78], v[26:27], -v[34:35]
	v_mul_f64 v[101:102], v[69:70], s[24:25]
	v_add_f64 v[83:84], v[40:41], v[28:29]
	v_add_f64 v[87:88], v[40:41], -v[28:29]
	v_mul_f64 v[69:70], v[69:70], s[22:23]
	v_add_f64 v[16:17], v[44:45], v[16:17]
	v_add_f64 v[18:19], v[46:47], v[18:19]
	v_mul_f64 v[44:45], v[56:57], s[26:27]
	v_mul_f64 v[46:47], v[56:57], s[18:19]
	;; [unrolled: 1-line block ×3, first 2 shown]
	s_mov_b32 s19, 0x3fed1bb4
	v_fma_f64 v[153:154], v[4:5], s[8:9], -v[91:92]
	v_fma_f64 v[157:158], v[6:7], s[14:15], v[97:98]
	v_fma_f64 v[91:92], v[4:5], s[8:9], v[91:92]
	;; [unrolled: 1-line block ×3, first 2 shown]
	v_fma_f64 v[155:156], v[4:5], s[20:21], -v[93:94]
	v_fma_f64 v[93:94], v[4:5], s[20:21], v[93:94]
	v_fma_f64 v[167:168], v[12:13], s[20:21], -v[119:120]
	v_fma_f64 v[169:170], v[14:15], s[20:21], v[121:122]
	v_mul_f64 v[147:148], v[67:68], s[18:19]
	v_fma_f64 v[181:182], v[12:13], s[6:7], -v[131:132]
	v_fma_f64 v[183:184], v[14:15], s[6:7], v[133:134]
	s_mov_b32 s31, 0x3fefac9e
	s_mov_b32 s30, s16
	v_fma_f64 v[161:162], v[6:7], s[20:21], v[101:102]
	v_mul_f64 v[123:124], v[77:78], s[30:31]
	v_mul_f64 v[125:126], v[75:76], s[30:31]
	v_add_f64 v[16:17], v[16:17], v[24:25]
	v_add_f64 v[18:19], v[18:19], v[26:27]
	v_fma_f64 v[149:150], v[4:5], s[4:5], -v[44:45]
	v_mul_f64 v[24:25], v[67:68], s[34:35]
	v_fma_f64 v[159:160], v[4:5], s[6:7], -v[56:57]
	v_mul_f64 v[26:27], v[65:66], s[34:35]
	v_add_f64 v[153:154], v[0:1], v[153:154]
	v_add_f64 v[157:158], v[2:3], v[157:158]
	;; [unrolled: 1-line block ×3, first 2 shown]
	v_mul_f64 v[139:140], v[79:80], s[30:31]
	v_mul_f64 v[141:142], v[81:82], s[30:31]
	;; [unrolled: 1-line block ×6, first 2 shown]
	v_fma_f64 v[163:164], v[12:13], s[14:15], -v[103:104]
	v_fma_f64 v[165:166], v[14:15], s[14:15], v[105:106]
	v_add_f64 v[151:152], v[2:3], v[151:152]
	v_fma_f64 v[185:186], v[58:59], s[14:15], -v[147:148]
	v_fma_f64 v[147:148], v[58:59], s[14:15], v[147:148]
	s_mov_b32 s29, 0x3fe14ced
	s_mov_b32 s28, s26
	v_add_f64 v[16:17], v[16:17], v[40:41]
	v_add_f64 v[18:19], v[18:19], v[42:43]
	v_fma_f64 v[42:43], v[4:5], s[4:5], v[44:45]
	v_fma_f64 v[44:45], v[4:5], s[14:15], -v[46:47]
	v_fma_f64 v[46:47], v[4:5], s[14:15], v[46:47]
	v_fma_f64 v[4:5], v[4:5], s[6:7], v[56:57]
	v_fma_f64 v[56:57], v[6:7], s[4:5], -v[95:96]
	v_fma_f64 v[95:96], v[6:7], s[14:15], -v[97:98]
	v_fma_f64 v[97:98], v[6:7], s[8:9], v[99:100]
	v_fma_f64 v[99:100], v[6:7], s[8:9], -v[99:100]
	v_mul_f64 v[40:41], v[65:66], s[18:19]
	v_fma_f64 v[177:178], v[58:59], s[6:7], -v[24:25]
	v_fma_f64 v[179:180], v[63:64], s[6:7], v[26:27]
	v_add_f64 v[157:158], v[169:170], v[157:158]
	v_add_f64 v[149:150], v[0:1], v[149:150]
	;; [unrolled: 1-line block ×3, first 2 shown]
	v_mul_f64 v[143:144], v[67:68], s[26:27]
	v_fma_f64 v[169:170], v[14:15], s[8:9], v[141:142]
	v_mul_f64 v[79:80], v[79:80], s[28:29]
	v_mul_f64 v[81:82], v[81:82], s[28:29]
	v_add_f64 v[151:152], v[165:166], v[151:152]
	v_fma_f64 v[165:166], v[73:74], s[4:5], v[137:138]
	v_add_f64 v[16:17], v[16:17], v[28:29]
	v_add_f64 v[18:19], v[18:19], v[30:31]
	v_fma_f64 v[28:29], v[6:7], s[20:21], -v[101:102]
	v_add_f64 v[44:45], v[0:1], v[44:45]
	v_fma_f64 v[30:31], v[6:7], s[6:7], v[69:70]
	v_fma_f64 v[6:7], v[6:7], s[6:7], -v[69:70]
	v_fma_f64 v[69:70], v[58:59], s[8:9], -v[107:108]
	v_fma_f64 v[101:102], v[63:64], s[8:9], v[109:110]
	v_add_f64 v[97:98], v[2:3], v[97:98]
	v_add_f64 v[99:100], v[2:3], v[99:100]
	v_fma_f64 v[187:188], v[63:64], s[14:15], v[40:41]
	v_fma_f64 v[40:41], v[63:64], s[14:15], -v[40:41]
	v_add_f64 v[93:94], v[0:1], v[93:94]
	v_mul_f64 v[113:114], v[75:76], s[24:25]
	v_add_f64 v[149:150], v[163:164], v[149:150]
	v_fma_f64 v[163:164], v[71:72], s[4:5], -v[135:136]
	v_mul_f64 v[145:146], v[65:66], s[26:27]
	v_fma_f64 v[141:142], v[14:15], s[8:9], -v[141:142]
	v_mul_f64 v[67:68], v[67:68], s[24:25]
	v_mul_f64 v[65:66], v[65:66], s[24:25]
	;; [unrolled: 1-line block ×3, first 2 shown]
	v_fma_f64 v[24:25], v[58:59], s[6:7], v[24:25]
	v_add_f64 v[16:17], v[16:17], v[32:33]
	v_add_f64 v[18:19], v[18:19], v[34:35]
	v_fma_f64 v[34:35], v[12:13], s[6:7], v[131:132]
	v_fma_f64 v[131:132], v[14:15], s[6:7], -v[133:134]
	v_add_f64 v[44:45], v[167:168], v[44:45]
	v_fma_f64 v[32:33], v[71:72], s[8:9], -v[123:124]
	v_fma_f64 v[133:134], v[73:74], s[8:9], v[125:126]
	v_fma_f64 v[167:168], v[12:13], s[8:9], -v[139:140]
	v_add_f64 v[97:98], v[183:184], v[97:98]
	v_add_f64 v[28:29], v[2:3], v[28:29]
	;; [unrolled: 1-line block ×4, first 2 shown]
	v_fma_f64 v[139:140], v[12:13], s[8:9], v[139:140]
	v_fma_f64 v[173:174], v[73:74], s[20:21], v[113:114]
	v_add_f64 v[69:70], v[69:70], v[149:150]
	v_fma_f64 v[26:27], v[63:64], s[6:7], -v[26:27]
	v_mul_f64 v[115:116], v[89:90], s[22:23]
	v_mul_f64 v[117:118], v[87:88], s[22:23]
	;; [unrolled: 1-line block ×4, first 2 shown]
	v_fma_f64 v[171:172], v[71:72], s[20:21], -v[111:112]
	v_add_f64 v[16:17], v[16:17], v[20:21]
	v_add_f64 v[20:21], v[0:1], v[42:43]
	;; [unrolled: 1-line block ×20, first 2 shown]
	v_mul_f64 v[101:102], v[87:88], s[24:25]
	v_fma_f64 v[175:176], v[83:84], s[6:7], -v[115:116]
	v_add_f64 v[16:17], v[16:17], v[36:37]
	v_add_f64 v[69:70], v[171:172], v[69:70]
	v_fma_f64 v[36:37], v[85:86], s[6:7], v[117:118]
	v_add_f64 v[34:35], v[147:148], v[34:35]
	v_add_f64 v[40:41], v[40:41], v[46:47]
	v_fma_f64 v[46:47], v[71:72], s[4:5], v[135:136]
	v_add_f64 v[18:19], v[18:19], v[38:39]
	v_mul_f64 v[38:39], v[89:90], s[24:25]
	v_add_f64 v[91:92], v[167:168], v[91:92]
	v_add_f64 v[32:33], v[32:33], v[44:45]
	v_add_f64 v[44:45], v[133:134], v[95:96]
	v_add_f64 v[95:96], v[169:170], v[99:100]
	v_fma_f64 v[99:100], v[58:59], s[4:5], -v[143:144]
	v_fma_f64 v[133:134], v[63:64], s[4:5], v[145:146]
	v_fma_f64 v[135:136], v[73:74], s[4:5], -v[137:138]
	v_add_f64 v[149:150], v[163:164], v[4:5]
	v_add_f64 v[151:152], v[165:166], v[6:7]
	v_fma_f64 v[4:5], v[12:13], s[4:5], -v[79:80]
	v_fma_f64 v[6:7], v[14:15], s[4:5], v[81:82]
	v_fma_f64 v[79:80], v[12:13], s[4:5], v[79:80]
	v_fma_f64 v[81:82], v[14:15], s[4:5], -v[81:82]
	v_fma_f64 v[137:138], v[83:84], s[4:5], -v[127:128]
	v_fma_f64 v[147:148], v[85:86], s[4:5], v[129:130]
	v_fma_f64 v[155:156], v[85:86], s[20:21], v[101:102]
	s_barrier
	buffer_gl0_inv
	v_add_f64 v[34:35], v[46:47], v[34:35]
	v_fma_f64 v[46:47], v[12:13], s[14:15], v[103:104]
	v_fma_f64 v[103:104], v[14:15], s[14:15], -v[105:106]
	v_fma_f64 v[12:13], v[12:13], s[20:21], v[119:120]
	v_fma_f64 v[14:15], v[14:15], s[20:21], -v[121:122]
	v_mul_f64 v[105:106], v[75:76], s[22:23]
	v_fma_f64 v[119:120], v[58:59], s[4:5], v[143:144]
	v_add_f64 v[91:92], v[99:100], v[91:92]
	v_mul_f64 v[99:100], v[77:78], s[22:23]
	v_fma_f64 v[121:122], v[63:64], s[4:5], -v[145:146]
	v_mul_f64 v[77:78], v[77:78], s[18:19]
	v_mul_f64 v[75:76], v[75:76], s[18:19]
	v_add_f64 v[4:5], v[4:5], v[131:132]
	v_add_f64 v[6:7], v[6:7], v[30:31]
	v_fma_f64 v[30:31], v[58:59], s[20:21], -v[67:68]
	v_fma_f64 v[131:132], v[63:64], s[20:21], v[65:66]
	v_add_f64 v[0:1], v[79:80], v[0:1]
	v_add_f64 v[2:3], v[81:82], v[2:3]
	v_fma_f64 v[67:68], v[58:59], s[20:21], v[67:68]
	v_fma_f64 v[65:66], v[63:64], s[20:21], -v[65:66]
	v_add_f64 v[95:96], v[133:134], v[95:96]
	v_mul_f64 v[79:80], v[87:88], s[18:19]
	v_mul_f64 v[87:88], v[87:88], s[16:17]
	v_add_f64 v[20:21], v[46:47], v[20:21]
	v_add_f64 v[22:23], v[103:104], v[22:23]
	;; [unrolled: 1-line block ×4, first 2 shown]
	v_fma_f64 v[42:43], v[58:59], s[8:9], v[107:108]
	v_fma_f64 v[46:47], v[63:64], s[8:9], -v[109:110]
	v_fma_f64 v[58:59], v[73:74], s[6:7], v[105:106]
	v_fma_f64 v[56:57], v[71:72], s[6:7], -v[99:100]
	v_mul_f64 v[63:64], v[89:90], s[18:19]
	v_add_f64 v[81:82], v[119:120], v[93:94]
	v_add_f64 v[28:29], v[121:122], v[28:29]
	v_fma_f64 v[93:94], v[71:72], s[6:7], v[99:100]
	v_fma_f64 v[99:100], v[73:74], s[6:7], -v[105:106]
	v_add_f64 v[4:5], v[30:31], v[4:5]
	v_add_f64 v[6:7], v[131:132], v[6:7]
	v_fma_f64 v[30:31], v[71:72], s[14:15], -v[77:78]
	v_fma_f64 v[103:104], v[73:74], s[14:15], v[75:76]
	v_mul_f64 v[89:90], v[89:90], s[16:17]
	v_add_f64 v[0:1], v[67:68], v[0:1]
	v_add_f64 v[2:3], v[65:66], v[2:3]
	v_fma_f64 v[65:66], v[71:72], s[14:15], v[77:78]
	v_fma_f64 v[67:68], v[73:74], s[14:15], -v[75:76]
	v_fma_f64 v[153:154], v[83:84], s[20:21], -v[38:39]
	v_fma_f64 v[75:76], v[85:86], s[14:15], v[79:80]
	v_add_f64 v[12:13], v[24:25], v[12:13]
	v_add_f64 v[14:15], v[26:27], v[14:15]
	;; [unrolled: 1-line block ×4, first 2 shown]
	v_fma_f64 v[42:43], v[71:72], s[8:9], v[123:124]
	v_fma_f64 v[46:47], v[73:74], s[8:9], -v[125:126]
	v_fma_f64 v[24:25], v[71:72], s[20:21], v[111:112]
	v_fma_f64 v[26:27], v[73:74], s[20:21], -v[113:114]
	v_add_f64 v[56:57], v[56:57], v[91:92]
	v_add_f64 v[58:59], v[58:59], v[95:96]
	v_fma_f64 v[73:74], v[83:84], s[14:15], -v[63:64]
	v_fma_f64 v[38:39], v[83:84], s[20:21], v[38:39]
	v_add_f64 v[77:78], v[93:94], v[81:82]
	v_add_f64 v[81:82], v[99:100], v[28:29]
	v_fma_f64 v[28:29], v[83:84], s[14:15], v[63:64]
	v_fma_f64 v[63:64], v[85:86], s[14:15], -v[79:80]
	v_add_f64 v[79:80], v[30:31], v[4:5]
	v_add_f64 v[91:92], v[103:104], v[6:7]
	v_fma_f64 v[93:94], v[83:84], s[8:9], -v[89:90]
	v_fma_f64 v[95:96], v[85:86], s[8:9], v[87:88]
	v_add_f64 v[0:1], v[65:66], v[0:1]
	v_add_f64 v[2:3], v[67:68], v[2:3]
	v_fma_f64 v[65:66], v[83:84], s[8:9], v[89:90]
	v_fma_f64 v[67:68], v[85:86], s[8:9], -v[87:88]
	v_add_f64 v[40:41], v[135:136], v[40:41]
	v_fma_f64 v[71:72], v[85:86], s[20:21], -v[101:102]
	v_add_f64 v[42:43], v[42:43], v[12:13]
	v_add_f64 v[46:47], v[46:47], v[14:15]
	v_fma_f64 v[99:100], v[83:84], s[6:7], v[115:116]
	v_fma_f64 v[83:84], v[83:84], s[4:5], v[127:128]
	v_fma_f64 v[101:102], v[85:86], s[4:5], -v[129:130]
	v_add_f64 v[87:88], v[24:25], v[20:21]
	v_add_f64 v[89:90], v[26:27], v[22:23]
	v_fma_f64 v[85:86], v[85:86], s[6:7], -v[117:118]
	v_add_f64 v[4:5], v[16:17], v[8:9]
	v_add_f64 v[6:7], v[18:19], v[10:11]
	v_add_f64 v[8:9], v[175:176], v[69:70]
	v_add_f64 v[10:11], v[36:37], v[97:98]
	v_add_f64 v[12:13], v[137:138], v[32:33]
	v_add_f64 v[14:15], v[147:148], v[44:45]
	v_add_f64 v[16:17], v[153:154], v[149:150]
	v_add_f64 v[18:19], v[155:156], v[151:152]
	v_add_f64 v[24:25], v[73:74], v[56:57]
	v_add_f64 v[26:27], v[75:76], v[58:59]
	v_add_f64 v[20:21], v[38:39], v[34:35]
	v_add_f64 v[32:33], v[93:94], v[79:80]
	v_add_f64 v[34:35], v[95:96], v[91:92]
	v_add_f64 v[36:37], v[65:66], v[0:1]
	v_add_f64 v[38:39], v[67:68], v[2:3]
	v_add_f64 v[28:29], v[28:29], v[77:78]
	v_add_f64 v[30:31], v[63:64], v[81:82]
	v_add_f64 v[22:23], v[71:72], v[40:41]
	v_add_f64 v[40:41], v[83:84], v[42:43]
	v_add_f64 v[42:43], v[101:102], v[46:47]
	v_add_f64 v[0:1], v[99:100], v[87:88]
	v_add_f64 v[2:3], v[85:86], v[89:90]
	v_mad_u32_u24 v44, 0xa0, v52, v62
	ds_write_b128 v44, v[4:7]
	ds_write_b128 v44, v[8:11] offset:16
	ds_write_b128 v44, v[12:15] offset:32
	;; [unrolled: 1-line block ×10, first 2 shown]
	s_waitcnt lgkmcnt(0)
	s_barrier
	buffer_gl0_inv
	ds_read_b128 v[8:11], v54
	ds_read_b128 v[12:15], v62 offset:352
	ds_read_b128 v[28:31], v62 offset:2288
	;; [unrolled: 1-line block ×9, first 2 shown]
                                        ; implicit-def: $vgpr6_vgpr7
	s_and_saveexec_b32 s1, s0
	s_cbranch_execz .LBB0_22
; %bb.21:
	ds_read_b128 v[0:3], v62 offset:1760
	ds_read_b128 v[4:7], v62 offset:3696
.LBB0_22:
	s_or_b32 exec_lo, exec_lo, s1
	v_add_nc_u16 v58, v52, 22
	v_add_nc_u16 v59, v52, 44
	;; [unrolled: 1-line block ×4, first 2 shown]
	v_add_nc_u32_e32 v69, -11, v52
	v_and_b32_e32 v53, 0xff, v58
	v_and_b32_e32 v56, 0xff, v59
	;; [unrolled: 1-line block ×4, first 2 shown]
	v_mov_b32_e32 v80, 0
	v_mul_lo_u16 v53, 0x75, v53
	v_mul_lo_u16 v56, 0x75, v56
	;; [unrolled: 1-line block ×4, first 2 shown]
	v_cndmask_b32_e64 v79, v69, v52, s0
	v_lshrrev_b16 v53, 8, v53
	v_lshrrev_b16 v56, 8, v56
	;; [unrolled: 1-line block ×4, first 2 shown]
	v_sub_nc_u16 v65, v58, v53
	v_sub_nc_u16 v66, v59, v56
	;; [unrolled: 1-line block ×4, first 2 shown]
	v_lshrrev_b16 v65, 1, v65
	v_lshrrev_b16 v66, 1, v66
	;; [unrolled: 1-line block ×4, first 2 shown]
	v_and_b32_e32 v65, 0x7f, v65
	v_and_b32_e32 v66, 0x7f, v66
	;; [unrolled: 1-line block ×4, first 2 shown]
	v_add_nc_u16 v65, v65, v53
	v_add_nc_u16 v56, v66, v56
	;; [unrolled: 1-line block ×4, first 2 shown]
	v_mov_b32_e32 v53, 4
	v_lshrrev_b16 v90, 3, v65
	v_lshrrev_b16 v91, 3, v56
	;; [unrolled: 1-line block ×4, first 2 shown]
	v_lshlrev_b64 v[56:57], 4, v[79:80]
	v_mul_lo_u16 v64, v90, 11
	v_mul_lo_u16 v65, v91, 11
	;; [unrolled: 1-line block ×4, first 2 shown]
	v_add_co_u32 v56, s1, s12, v56
	v_sub_nc_u16 v58, v58, v64
	v_sub_nc_u16 v59, v59, v65
	v_add_co_ci_u32_e64 v57, s1, s13, v57, s1
	v_sub_nc_u16 v60, v60, v66
	v_lshlrev_b32_sdwa v94, v53, v58 dst_sel:DWORD dst_unused:UNUSED_PAD src0_sel:DWORD src1_sel:BYTE_0
	v_sub_nc_u16 v67, v63, v67
	v_lshlrev_b32_sdwa v95, v53, v59 dst_sel:DWORD dst_unused:UNUSED_PAD src0_sel:DWORD src1_sel:BYTE_0
	global_load_dwordx4 v[56:59], v[56:57], off
	v_lshlrev_b32_sdwa v60, v53, v60 dst_sel:DWORD dst_unused:UNUSED_PAD src0_sel:DWORD src1_sel:BYTE_0
	global_load_dwordx4 v[63:66], v94, s[12:13]
	v_lshlrev_b32_sdwa v96, v53, v67 dst_sel:DWORD dst_unused:UNUSED_PAD src0_sel:DWORD src1_sel:BYTE_0
	s_clause 0x2
	global_load_dwordx4 v[67:70], v95, s[12:13]
	global_load_dwordx4 v[71:74], v60, s[12:13]
	;; [unrolled: 1-line block ×3, first 2 shown]
	v_cmp_lt_u32_e64 s1, 10, v52
	s_waitcnt vmcnt(0) lgkmcnt(0)
	s_barrier
	buffer_gl0_inv
	v_mul_f64 v[80:81], v[46:47], v[58:59]
	v_mul_f64 v[58:59], v[44:45], v[58:59]
	;; [unrolled: 1-line block ×10, first 2 shown]
	v_fma_f64 v[44:45], v[44:45], v[56:57], -v[80:81]
	v_fma_f64 v[46:47], v[46:47], v[56:57], v[58:59]
	v_fma_f64 v[56:57], v[28:29], v[63:64], -v[82:83]
	v_fma_f64 v[58:59], v[30:31], v[63:64], v[65:66]
	;; [unrolled: 2-line block ×5, first 2 shown]
	v_add_f64 v[28:29], v[8:9], -v[44:45]
	v_add_f64 v[30:31], v[10:11], -v[46:47]
	;; [unrolled: 1-line block ×10, first 2 shown]
	v_cndmask_b32_e64 v56, 0, 0x160, s1
	v_lshlrev_b32_e32 v57, 4, v79
	v_and_b32_e32 v58, 0xffff, v90
	v_and_b32_e32 v59, 0xffff, v91
	;; [unrolled: 1-line block ×3, first 2 shown]
	v_add_nc_u32_e32 v56, 0, v56
	v_and_b32_e32 v64, 0xffff, v93
	v_add3_u32 v56, v56, v57, v55
	v_mad_u32_u24 v57, 0x160, v58, 0
	v_fma_f64 v[8:9], v[8:9], 2.0, -v[28:29]
	v_fma_f64 v[10:11], v[10:11], 2.0, -v[30:31]
	;; [unrolled: 1-line block ×10, first 2 shown]
	v_mad_u32_u24 v58, 0x160, v59, 0
	v_mad_u32_u24 v59, 0x160, v63, 0
	;; [unrolled: 1-line block ×3, first 2 shown]
	v_add3_u32 v57, v57, v94, v55
	v_add3_u32 v58, v58, v95, v55
	;; [unrolled: 1-line block ×4, first 2 shown]
	ds_write_b128 v56, v[28:31] offset:176
	ds_write_b128 v56, v[8:11]
	ds_write_b128 v57, v[32:35] offset:176
	ds_write_b128 v57, v[12:15]
	ds_write_b128 v58, v[20:23]
	ds_write_b128 v58, v[36:39] offset:176
	ds_write_b128 v59, v[16:19]
	ds_write_b128 v59, v[40:43] offset:176
	;; [unrolled: 2-line block ×3, first 2 shown]
	s_and_saveexec_b32 s1, s0
	s_cbranch_execz .LBB0_24
; %bb.23:
	v_add_nc_u16 v8, v52, 0x6e
	v_and_b32_e32 v9, 0xff, v8
	v_mul_lo_u16 v9, 0x75, v9
	v_lshrrev_b16 v9, 8, v9
	v_sub_nc_u16 v10, v8, v9
	v_lshrrev_b16 v10, 1, v10
	v_and_b32_e32 v10, 0x7f, v10
	v_add_nc_u16 v9, v10, v9
	v_lshrrev_b16 v9, 3, v9
	v_mul_lo_u16 v9, v9, 11
	v_sub_nc_u16 v8, v8, v9
	v_lshlrev_b32_sdwa v14, v53, v8 dst_sel:DWORD dst_unused:UNUSED_PAD src0_sel:DWORD src1_sel:BYTE_0
	global_load_dwordx4 v[8:11], v14, s[12:13]
	s_waitcnt vmcnt(0)
	v_mul_f64 v[12:13], v[4:5], v[10:11]
	v_mul_f64 v[10:11], v[6:7], v[10:11]
	v_fma_f64 v[6:7], v[6:7], v[8:9], v[12:13]
	v_fma_f64 v[4:5], v[4:5], v[8:9], -v[10:11]
	v_add3_u32 v8, 0, v14, v55
	v_add_f64 v[6:7], v[2:3], -v[6:7]
	v_add_f64 v[4:5], v[0:1], -v[4:5]
	v_fma_f64 v[2:3], v[2:3], 2.0, -v[6:7]
	v_fma_f64 v[0:1], v[0:1], 2.0, -v[4:5]
	ds_write_b128 v8, v[0:3] offset:3520
	ds_write_b128 v8, v[4:7] offset:3696
.LBB0_24:
	s_or_b32 exec_lo, exec_lo, s1
	v_mul_u32_u24_e32 v0, 10, v52
	s_waitcnt lgkmcnt(0)
	s_barrier
	buffer_gl0_inv
	s_mov_b32 s14, 0xf8bb580b
	v_lshlrev_b32_e32 v0, 4, v0
	s_mov_b32 s15, 0xbfe14ced
	s_mov_b32 s17, 0xbfed1bb4
	;; [unrolled: 1-line block ×4, first 2 shown]
	s_clause 0x9
	global_load_dwordx4 v[4:7], v0, s[12:13] offset:176
	global_load_dwordx4 v[8:11], v0, s[12:13] offset:320
	;; [unrolled: 1-line block ×10, first 2 shown]
	ds_read_b128 v[0:3], v54
	ds_read_b128 v[53:56], v62 offset:352
	ds_read_b128 v[57:60], v62 offset:704
	ds_read_b128 v[63:66], v62 offset:1056
	ds_read_b128 v[67:70], v62 offset:3520
	ds_read_b128 v[71:74], v62 offset:1408
	ds_read_b128 v[75:78], v62 offset:1760
	ds_read_b128 v[79:82], v62 offset:2112
	ds_read_b128 v[83:86], v62 offset:2464
	ds_read_b128 v[87:90], v62 offset:2816
	ds_read_b128 v[91:94], v62 offset:3168
	s_mov_b32 s19, 0xbfefac9e
	s_mov_b32 s20, 0xbb3a28a1
	;; [unrolled: 1-line block ×18, first 2 shown]
	s_waitcnt vmcnt(0) lgkmcnt(0)
	s_barrier
	buffer_gl0_inv
	v_mul_f64 v[28:29], v[55:56], v[6:7]
	v_mul_f64 v[6:7], v[53:54], v[6:7]
	;; [unrolled: 1-line block ×20, first 2 shown]
	v_fma_f64 v[115:116], v[53:54], v[4:5], -v[28:29]
	v_fma_f64 v[55:56], v[55:56], v[4:5], v[6:7]
	v_fma_f64 v[4:5], v[69:70], v[8:9], v[34:35]
	v_fma_f64 v[6:7], v[67:68], v[8:9], -v[10:11]
	v_fma_f64 v[46:47], v[57:58], v[12:13], -v[95:96]
	v_fma_f64 v[53:54], v[59:60], v[12:13], v[14:15]
	v_fma_f64 v[8:9], v[93:94], v[16:17], v[97:98]
	v_fma_f64 v[10:11], v[91:92], v[16:17], -v[18:19]
	v_fma_f64 v[32:33], v[63:64], v[20:21], -v[99:100]
	v_fma_f64 v[34:35], v[65:66], v[20:21], v[22:23]
	v_fma_f64 v[12:13], v[87:88], v[24:25], -v[101:102]
	v_fma_f64 v[14:15], v[89:90], v[24:25], v[26:27]
	;; [unrolled: 2-line block ×3, first 2 shown]
	v_fma_f64 v[16:17], v[85:86], v[36:37], v[107:108]
	v_fma_f64 v[18:19], v[83:84], v[36:37], -v[38:39]
	v_fma_f64 v[24:25], v[75:76], v[40:41], -v[109:110]
	v_fma_f64 v[26:27], v[77:78], v[40:41], v[42:43]
	v_fma_f64 v[20:21], v[81:82], v[44:45], v[111:112]
	v_fma_f64 v[22:23], v[79:80], v[44:45], -v[113:114]
	v_add_f64 v[63:64], v[0:1], v[115:116]
	v_add_f64 v[65:66], v[2:3], v[55:56]
	v_add_f64 v[67:68], v[55:56], -v[4:5]
	v_add_f64 v[69:70], v[115:116], -v[6:7]
	v_add_f64 v[44:45], v[55:56], v[4:5]
	v_add_f64 v[42:43], v[115:116], v[6:7]
	v_add_f64 v[59:60], v[53:54], -v[8:9]
	v_add_f64 v[57:58], v[46:47], -v[10:11]
	v_add_f64 v[38:39], v[46:47], v[10:11]
	v_add_f64 v[40:41], v[53:54], v[8:9]
	;; [unrolled: 1-line block ×3, first 2 shown]
	v_add_f64 v[55:56], v[34:35], -v[14:15]
	v_add_f64 v[71:72], v[32:33], -v[12:13]
	v_add_f64 v[73:74], v[34:35], v[14:15]
	v_add_f64 v[75:76], v[30:31], -v[16:17]
	v_add_f64 v[79:80], v[28:29], -v[18:19]
	v_add_f64 v[77:78], v[28:29], v[18:19]
	v_add_f64 v[81:82], v[30:31], v[16:17]
	v_add_f64 v[83:84], v[26:27], -v[20:21]
	v_add_f64 v[87:88], v[24:25], -v[22:23]
	v_add_f64 v[85:86], v[24:25], v[22:23]
	v_add_f64 v[89:90], v[26:27], v[20:21]
	;; [unrolled: 1-line block ×4, first 2 shown]
	v_mul_f64 v[63:64], v[67:68], s[14:15]
	v_mul_f64 v[65:66], v[69:70], s[14:15]
	v_mul_f64 v[91:92], v[67:68], s[16:17]
	v_mul_f64 v[93:94], v[69:70], s[16:17]
	v_mul_f64 v[95:96], v[67:68], s[18:19]
	v_mul_f64 v[97:98], v[69:70], s[18:19]
	v_mul_f64 v[99:100], v[67:68], s[20:21]
	v_mul_f64 v[101:102], v[69:70], s[20:21]
	v_mul_f64 v[67:68], v[67:68], s[22:23]
	v_mul_f64 v[69:70], v[69:70], s[22:23]
	v_mul_f64 v[103:104], v[59:60], s[16:17]
	v_mul_f64 v[105:106], v[57:58], s[16:17]
	s_mov_b32 s17, 0x3fed1bb4
	v_mul_f64 v[107:108], v[59:60], s[20:21]
	v_mul_f64 v[109:110], v[57:58], s[20:21]
	;; [unrolled: 1-line block ×7, first 2 shown]
	v_add_f64 v[32:33], v[46:47], v[32:33]
	v_add_f64 v[34:35], v[53:54], v[34:35]
	v_fma_f64 v[167:168], v[42:43], s[0:1], -v[63:64]
	v_fma_f64 v[169:170], v[44:45], s[0:1], v[65:66]
	v_mul_f64 v[57:58], v[57:58], s[28:29]
	v_mul_f64 v[119:120], v[55:56], s[18:19]
	;; [unrolled: 1-line block ×18, first 2 shown]
	v_add_f64 v[28:29], v[32:33], v[28:29]
	v_add_f64 v[30:31], v[34:35], v[30:31]
	v_mul_f64 v[153:154], v[83:84], s[28:29]
	v_mul_f64 v[155:156], v[83:84], s[20:21]
	;; [unrolled: 1-line block ×13, first 2 shown]
	v_fma_f64 v[63:64], v[42:43], s[0:1], v[63:64]
	v_fma_f64 v[65:66], v[44:45], s[0:1], -v[65:66]
	v_fma_f64 v[171:172], v[42:43], s[4:5], -v[91:92]
	v_fma_f64 v[173:174], v[44:45], s[4:5], v[93:94]
	v_fma_f64 v[91:92], v[42:43], s[4:5], v[91:92]
	v_fma_f64 v[175:176], v[42:43], s[6:7], -v[95:96]
	v_fma_f64 v[177:178], v[44:45], s[6:7], v[97:98]
	v_fma_f64 v[95:96], v[42:43], s[6:7], v[95:96]
	v_fma_f64 v[179:180], v[42:43], s[8:9], -v[99:100]
	v_fma_f64 v[181:182], v[44:45], s[8:9], v[101:102]
	v_fma_f64 v[99:100], v[42:43], s[8:9], v[99:100]
	v_fma_f64 v[183:184], v[42:43], s[12:13], -v[67:68]
	v_fma_f64 v[185:186], v[44:45], s[12:13], v[69:70]
	v_fma_f64 v[93:94], v[44:45], s[4:5], -v[93:94]
	v_fma_f64 v[97:98], v[44:45], s[6:7], -v[97:98]
	;; [unrolled: 1-line block ×3, first 2 shown]
	v_fma_f64 v[42:43], v[42:43], s[12:13], v[67:68]
	v_fma_f64 v[44:45], v[44:45], s[12:13], -v[69:70]
	v_add_f64 v[24:25], v[28:29], v[24:25]
	v_add_f64 v[26:27], v[30:31], v[26:27]
	v_fma_f64 v[67:68], v[38:39], s[4:5], -v[103:104]
	v_fma_f64 v[69:70], v[40:41], s[4:5], v[105:106]
	v_add_f64 v[28:29], v[0:1], v[167:168]
	v_add_f64 v[30:31], v[2:3], v[169:170]
	v_fma_f64 v[103:104], v[38:39], s[4:5], v[103:104]
	v_fma_f64 v[105:106], v[40:41], s[4:5], -v[105:106]
	v_fma_f64 v[187:188], v[38:39], s[8:9], -v[107:108]
	v_fma_f64 v[189:190], v[40:41], s[8:9], v[109:110]
	v_fma_f64 v[107:108], v[38:39], s[8:9], v[107:108]
	v_fma_f64 v[109:110], v[40:41], s[8:9], -v[109:110]
	v_fma_f64 v[191:192], v[38:39], s[12:13], -v[111:112]
	v_fma_f64 v[193:194], v[40:41], s[12:13], v[113:114]
	;; [unrolled: 4-line block ×5, first 2 shown]
	v_fma_f64 v[119:120], v[36:37], s[12:13], -v[121:122]
	v_fma_f64 v[121:122], v[36:37], s[12:13], v[121:122]
	v_fma_f64 v[203:204], v[36:37], s[0:1], -v[123:124]
	v_fma_f64 v[123:124], v[36:37], s[0:1], v[123:124]
	v_fma_f64 v[205:206], v[36:37], s[8:9], -v[125:126]
	v_fma_f64 v[125:126], v[36:37], s[8:9], v[125:126]
	v_fma_f64 v[46:47], v[73:74], s[6:7], v[127:128]
	v_fma_f64 v[53:54], v[73:74], s[6:7], -v[127:128]
	v_fma_f64 v[127:128], v[73:74], s[12:13], v[129:130]
	v_fma_f64 v[129:130], v[73:74], s[12:13], -v[129:130]
	v_fma_f64 v[207:208], v[73:74], s[0:1], v[131:132]
	v_fma_f64 v[131:132], v[73:74], s[0:1], -v[131:132]
	v_fma_f64 v[209:210], v[73:74], s[8:9], v[133:134]
	v_fma_f64 v[133:134], v[73:74], s[8:9], -v[133:134]
	v_fma_f64 v[211:212], v[77:78], s[8:9], -v[135:136]
	v_fma_f64 v[135:136], v[77:78], s[8:9], v[135:136]
	v_fma_f64 v[213:214], v[77:78], s[6:7], -v[137:138]
	v_fma_f64 v[137:138], v[77:78], s[6:7], v[137:138]
	v_fma_f64 v[215:216], v[77:78], s[0:1], -v[139:140]
	v_fma_f64 v[139:140], v[77:78], s[0:1], v[139:140]
	v_fma_f64 v[217:218], v[77:78], s[12:13], -v[141:142]
	v_fma_f64 v[141:142], v[77:78], s[12:13], v[141:142]
	v_fma_f64 v[219:220], v[81:82], s[8:9], v[143:144]
	v_fma_f64 v[143:144], v[81:82], s[8:9], -v[143:144]
	v_fma_f64 v[221:222], v[81:82], s[6:7], v[145:146]
	v_fma_f64 v[145:146], v[81:82], s[6:7], -v[145:146]
	v_fma_f64 v[223:224], v[81:82], s[0:1], v[147:148]
	v_fma_f64 v[147:148], v[81:82], s[0:1], -v[147:148]
	v_fma_f64 v[225:226], v[81:82], s[12:13], v[149:150]
	v_fma_f64 v[149:150], v[81:82], s[12:13], -v[149:150]
	v_fma_f64 v[227:228], v[85:86], s[12:13], -v[151:152]
	v_fma_f64 v[151:152], v[85:86], s[12:13], v[151:152]
	;; [unrolled: 16-line block ×3, first 2 shown]
	v_fma_f64 v[55:56], v[73:74], s[4:5], v[71:72]
	v_fma_f64 v[71:72], v[73:74], s[4:5], -v[71:72]
	v_fma_f64 v[73:74], v[77:78], s[4:5], -v[75:76]
	v_fma_f64 v[75:76], v[77:78], s[4:5], v[75:76]
	v_fma_f64 v[77:78], v[81:82], s[4:5], v[79:80]
	v_fma_f64 v[79:80], v[81:82], s[4:5], -v[79:80]
	v_fma_f64 v[81:82], v[85:86], s[4:5], -v[83:84]
	v_fma_f64 v[83:84], v[85:86], s[4:5], v[83:84]
	v_fma_f64 v[85:86], v[89:90], s[4:5], v[87:88]
	v_fma_f64 v[87:88], v[89:90], s[4:5], -v[87:88]
	v_add_f64 v[63:64], v[0:1], v[63:64]
	v_add_f64 v[65:66], v[2:3], v[65:66]
	;; [unrolled: 1-line block ×108, first 2 shown]
	ds_write_b128 v62, v[0:3] offset:352
	ds_write_b128 v62, v[12:15] offset:704
	;; [unrolled: 1-line block ×10, first 2 shown]
	ds_write_b128 v62, v[44:47]
	s_waitcnt lgkmcnt(0)
	s_barrier
	buffer_gl0_inv
	s_and_saveexec_b32 s0, vcc_lo
	s_cbranch_execz .LBB0_26
; %bb.25:
	v_mul_lo_u32 v2, s3, v50
	v_mul_lo_u32 v3, s2, v51
	v_mad_u64_u32 v[0:1], null, s2, v50, 0
	v_lshl_add_u32 v28, v52, 4, v61
	v_mov_b32_e32 v53, 0
	v_lshlrev_b64 v[8:9], 4, v[48:49]
	v_add_nc_u32_e32 v12, 22, v52
	v_add_nc_u32_e32 v22, 0x6e, v52
	;; [unrolled: 1-line block ×3, first 2 shown]
	v_add3_u32 v1, v1, v3, v2
	v_mov_b32_e32 v13, v53
	v_lshlrev_b64 v[14:15], 4, v[52:53]
	v_mov_b32_e32 v23, v53
	v_mov_b32_e32 v25, v53
	v_lshlrev_b64 v[10:11], 4, v[0:1]
	ds_read_b128 v[0:3], v28
	ds_read_b128 v[4:7], v28 offset:352
	v_lshlrev_b64 v[22:23], 4, v[22:23]
	v_add_co_u32 v10, vcc_lo, s10, v10
	v_add_co_ci_u32_e32 v11, vcc_lo, s11, v11, vcc_lo
	v_add_co_u32 v30, vcc_lo, v10, v8
	v_add_co_ci_u32_e32 v31, vcc_lo, v11, v9, vcc_lo
	v_lshlrev_b64 v[8:9], 4, v[12:13]
	v_add_co_u32 v10, vcc_lo, v30, v14
	v_add_co_ci_u32_e32 v11, vcc_lo, v31, v15, vcc_lo
	v_add_nc_u32_e32 v12, 44, v52
	v_add_co_u32 v8, vcc_lo, v30, v8
	v_add_co_ci_u32_e32 v9, vcc_lo, v31, v9, vcc_lo
	s_waitcnt lgkmcnt(1)
	global_store_dwordx4 v[10:11], v[0:3], off
	s_waitcnt lgkmcnt(0)
	global_store_dwordx4 v[8:9], v[4:7], off
	v_lshlrev_b64 v[0:1], 4, v[12:13]
	v_add_nc_u32_e32 v8, 0x42, v52
	v_mov_b32_e32 v9, v53
	v_add_nc_u32_e32 v10, 0x58, v52
	v_mov_b32_e32 v11, v53
	v_add_co_u32 v16, vcc_lo, v30, v0
	v_add_co_ci_u32_e32 v17, vcc_lo, v31, v1, vcc_lo
	ds_read_b128 v[0:3], v28 offset:704
	ds_read_b128 v[4:7], v28 offset:1056
	v_lshlrev_b64 v[18:19], 4, v[8:9]
	v_lshlrev_b64 v[20:21], 4, v[10:11]
	ds_read_b128 v[8:11], v28 offset:1408
	ds_read_b128 v[12:15], v28 offset:1760
	v_add_co_u32 v18, vcc_lo, v30, v18
	v_add_co_ci_u32_e32 v19, vcc_lo, v31, v19, vcc_lo
	v_add_co_u32 v20, vcc_lo, v30, v20
	v_add_co_ci_u32_e32 v21, vcc_lo, v31, v21, vcc_lo
	v_add_co_u32 v22, vcc_lo, v30, v22
	s_waitcnt lgkmcnt(3)
	global_store_dwordx4 v[16:17], v[0:3], off
	s_waitcnt lgkmcnt(2)
	global_store_dwordx4 v[18:19], v[4:7], off
	v_add_nc_u32_e32 v2, 0x9a, v52
	v_mov_b32_e32 v3, v53
	v_add_co_ci_u32_e32 v23, vcc_lo, v31, v23, vcc_lo
	v_lshlrev_b64 v[0:1], 4, v[24:25]
	s_waitcnt lgkmcnt(1)
	global_store_dwordx4 v[20:21], v[8:11], off
	s_waitcnt lgkmcnt(0)
	global_store_dwordx4 v[22:23], v[12:15], off
	v_lshlrev_b64 v[8:9], 4, v[2:3]
	v_add_nc_u32_e32 v10, 0xb0, v52
	v_mov_b32_e32 v11, v53
	v_add_co_u32 v20, vcc_lo, v30, v0
	v_add_co_ci_u32_e32 v21, vcc_lo, v31, v1, vcc_lo
	v_add_co_u32 v22, vcc_lo, v30, v8
	ds_read_b128 v[0:3], v28 offset:2112
	ds_read_b128 v[4:7], v28 offset:2464
	v_add_co_ci_u32_e32 v23, vcc_lo, v31, v9, vcc_lo
	v_lshlrev_b64 v[26:27], 4, v[10:11]
	ds_read_b128 v[8:11], v28 offset:2816
	ds_read_b128 v[12:15], v28 offset:3168
	;; [unrolled: 1-line block ×3, first 2 shown]
	v_add_nc_u32_e32 v24, 0xc6, v52
	v_add_nc_u32_e32 v52, 0xdc, v52
	v_add_co_u32 v26, vcc_lo, v30, v26
	v_lshlrev_b64 v[24:25], 4, v[24:25]
	v_lshlrev_b64 v[28:29], 4, v[52:53]
	v_add_co_ci_u32_e32 v27, vcc_lo, v31, v27, vcc_lo
	v_add_co_u32 v24, vcc_lo, v30, v24
	v_add_co_ci_u32_e32 v25, vcc_lo, v31, v25, vcc_lo
	v_add_co_u32 v28, vcc_lo, v30, v28
	v_add_co_ci_u32_e32 v29, vcc_lo, v31, v29, vcc_lo
	s_waitcnt lgkmcnt(4)
	global_store_dwordx4 v[20:21], v[0:3], off
	s_waitcnt lgkmcnt(3)
	global_store_dwordx4 v[22:23], v[4:7], off
	;; [unrolled: 2-line block ×5, first 2 shown]
.LBB0_26:
	s_endpgm
	.section	.rodata,"a",@progbits
	.p2align	6, 0x0
	.amdhsa_kernel fft_rtc_fwd_len242_factors_11_2_11_wgs_110_tpt_22_dp_op_CI_CI_unitstride_sbrr_C2R_dirReg
		.amdhsa_group_segment_fixed_size 0
		.amdhsa_private_segment_fixed_size 0
		.amdhsa_kernarg_size 104
		.amdhsa_user_sgpr_count 6
		.amdhsa_user_sgpr_private_segment_buffer 1
		.amdhsa_user_sgpr_dispatch_ptr 0
		.amdhsa_user_sgpr_queue_ptr 0
		.amdhsa_user_sgpr_kernarg_segment_ptr 1
		.amdhsa_user_sgpr_dispatch_id 0
		.amdhsa_user_sgpr_flat_scratch_init 0
		.amdhsa_user_sgpr_private_segment_size 0
		.amdhsa_wavefront_size32 1
		.amdhsa_uses_dynamic_stack 0
		.amdhsa_system_sgpr_private_segment_wavefront_offset 0
		.amdhsa_system_sgpr_workgroup_id_x 1
		.amdhsa_system_sgpr_workgroup_id_y 0
		.amdhsa_system_sgpr_workgroup_id_z 0
		.amdhsa_system_sgpr_workgroup_info 0
		.amdhsa_system_vgpr_workitem_id 0
		.amdhsa_next_free_vgpr 241
		.amdhsa_next_free_sgpr 36
		.amdhsa_reserve_vcc 1
		.amdhsa_reserve_flat_scratch 0
		.amdhsa_float_round_mode_32 0
		.amdhsa_float_round_mode_16_64 0
		.amdhsa_float_denorm_mode_32 3
		.amdhsa_float_denorm_mode_16_64 3
		.amdhsa_dx10_clamp 1
		.amdhsa_ieee_mode 1
		.amdhsa_fp16_overflow 0
		.amdhsa_workgroup_processor_mode 1
		.amdhsa_memory_ordered 1
		.amdhsa_forward_progress 0
		.amdhsa_shared_vgpr_count 0
		.amdhsa_exception_fp_ieee_invalid_op 0
		.amdhsa_exception_fp_denorm_src 0
		.amdhsa_exception_fp_ieee_div_zero 0
		.amdhsa_exception_fp_ieee_overflow 0
		.amdhsa_exception_fp_ieee_underflow 0
		.amdhsa_exception_fp_ieee_inexact 0
		.amdhsa_exception_int_div_zero 0
	.end_amdhsa_kernel
	.text
.Lfunc_end0:
	.size	fft_rtc_fwd_len242_factors_11_2_11_wgs_110_tpt_22_dp_op_CI_CI_unitstride_sbrr_C2R_dirReg, .Lfunc_end0-fft_rtc_fwd_len242_factors_11_2_11_wgs_110_tpt_22_dp_op_CI_CI_unitstride_sbrr_C2R_dirReg
                                        ; -- End function
	.section	.AMDGPU.csdata,"",@progbits
; Kernel info:
; codeLenInByte = 10752
; NumSgprs: 38
; NumVgprs: 241
; ScratchSize: 0
; MemoryBound: 0
; FloatMode: 240
; IeeeMode: 1
; LDSByteSize: 0 bytes/workgroup (compile time only)
; SGPRBlocks: 4
; VGPRBlocks: 30
; NumSGPRsForWavesPerEU: 38
; NumVGPRsForWavesPerEU: 241
; Occupancy: 4
; WaveLimiterHint : 1
; COMPUTE_PGM_RSRC2:SCRATCH_EN: 0
; COMPUTE_PGM_RSRC2:USER_SGPR: 6
; COMPUTE_PGM_RSRC2:TRAP_HANDLER: 0
; COMPUTE_PGM_RSRC2:TGID_X_EN: 1
; COMPUTE_PGM_RSRC2:TGID_Y_EN: 0
; COMPUTE_PGM_RSRC2:TGID_Z_EN: 0
; COMPUTE_PGM_RSRC2:TIDIG_COMP_CNT: 0
	.text
	.p2alignl 6, 3214868480
	.fill 48, 4, 3214868480
	.type	__hip_cuid_4a04c1aa16b33522,@object ; @__hip_cuid_4a04c1aa16b33522
	.section	.bss,"aw",@nobits
	.globl	__hip_cuid_4a04c1aa16b33522
__hip_cuid_4a04c1aa16b33522:
	.byte	0                               ; 0x0
	.size	__hip_cuid_4a04c1aa16b33522, 1

	.ident	"AMD clang version 19.0.0git (https://github.com/RadeonOpenCompute/llvm-project roc-6.4.0 25133 c7fe45cf4b819c5991fe208aaa96edf142730f1d)"
	.section	".note.GNU-stack","",@progbits
	.addrsig
	.addrsig_sym __hip_cuid_4a04c1aa16b33522
	.amdgpu_metadata
---
amdhsa.kernels:
  - .args:
      - .actual_access:  read_only
        .address_space:  global
        .offset:         0
        .size:           8
        .value_kind:     global_buffer
      - .offset:         8
        .size:           8
        .value_kind:     by_value
      - .actual_access:  read_only
        .address_space:  global
        .offset:         16
        .size:           8
        .value_kind:     global_buffer
      - .actual_access:  read_only
        .address_space:  global
        .offset:         24
        .size:           8
        .value_kind:     global_buffer
      - .actual_access:  read_only
        .address_space:  global
        .offset:         32
        .size:           8
        .value_kind:     global_buffer
      - .offset:         40
        .size:           8
        .value_kind:     by_value
      - .actual_access:  read_only
        .address_space:  global
        .offset:         48
        .size:           8
        .value_kind:     global_buffer
      - .actual_access:  read_only
        .address_space:  global
        .offset:         56
        .size:           8
        .value_kind:     global_buffer
      - .offset:         64
        .size:           4
        .value_kind:     by_value
      - .actual_access:  read_only
        .address_space:  global
        .offset:         72
        .size:           8
        .value_kind:     global_buffer
      - .actual_access:  read_only
        .address_space:  global
        .offset:         80
        .size:           8
        .value_kind:     global_buffer
      - .actual_access:  read_only
        .address_space:  global
        .offset:         88
        .size:           8
        .value_kind:     global_buffer
      - .actual_access:  write_only
        .address_space:  global
        .offset:         96
        .size:           8
        .value_kind:     global_buffer
    .group_segment_fixed_size: 0
    .kernarg_segment_align: 8
    .kernarg_segment_size: 104
    .language:       OpenCL C
    .language_version:
      - 2
      - 0
    .max_flat_workgroup_size: 110
    .name:           fft_rtc_fwd_len242_factors_11_2_11_wgs_110_tpt_22_dp_op_CI_CI_unitstride_sbrr_C2R_dirReg
    .private_segment_fixed_size: 0
    .sgpr_count:     38
    .sgpr_spill_count: 0
    .symbol:         fft_rtc_fwd_len242_factors_11_2_11_wgs_110_tpt_22_dp_op_CI_CI_unitstride_sbrr_C2R_dirReg.kd
    .uniform_work_group_size: 1
    .uses_dynamic_stack: false
    .vgpr_count:     241
    .vgpr_spill_count: 0
    .wavefront_size: 32
    .workgroup_processor_mode: 1
amdhsa.target:   amdgcn-amd-amdhsa--gfx1030
amdhsa.version:
  - 1
  - 2
...

	.end_amdgpu_metadata
